;; amdgpu-corpus repo=ROCm/rocm-libraries kind=compiled arch=gfx1250 opt=O3
	.amdgcn_target "amdgcn-amd-amdhsa--gfx1250"
	.amdhsa_code_object_version 6
	.text
	.protected	miopen_conv3d_depthwise_fwd ; -- Begin function miopen_conv3d_depthwise_fwd
	.globl	miopen_conv3d_depthwise_fwd
	.p2align	8
	.type	miopen_conv3d_depthwise_fwd,@function
miopen_conv3d_depthwise_fwd:            ; @miopen_conv3d_depthwise_fwd
; %bb.0:
	s_load_b256 s[4:11], s[0:1], 0x20
	s_getreg_b32 s24, hwreg(HW_REG_IB_STS2, 6, 4)
	v_lshlrev_b32_e32 v36, 1, v0
	s_mov_b32 s21, 0
	s_wait_kmcnt 0x0
	s_abs_i32 s2, s4
	s_abs_i32 s13, s8
	s_cvt_f32_u32 s3, s2
	s_sub_co_i32 s12, 0, s2
	s_delay_alu instid0(SALU_CYCLE_2) | instskip(SKIP_1) | instid1(TRANS32_DEP_1)
	v_rcp_iflag_f32_e32 v1, s3
	v_nop
	v_readfirstlane_b32 s3, v1
	s_mul_f32 s3, s3, 0x4f7ffffe
	s_delay_alu instid0(SALU_CYCLE_3) | instskip(NEXT) | instid1(SALU_CYCLE_3)
	s_cvt_u32_f32 s3, s3
	s_mul_i32 s12, s12, s3
	s_delay_alu instid0(SALU_CYCLE_1) | instskip(NEXT) | instid1(SALU_CYCLE_1)
	s_mul_hi_u32 s12, s3, s12
	s_add_co_i32 s3, s3, s12
	s_xor_b32 s12, s8, s4
	s_mul_hi_u32 s3, s13, s3
	s_ashr_i32 s12, s12, 31
	s_mul_i32 s14, s3, s2
	s_delay_alu instid0(SALU_CYCLE_1)
	s_sub_co_i32 s13, s13, s14
	s_add_co_i32 s14, s3, 1
	s_sub_co_i32 s15, s13, s2
	s_cmp_ge_u32 s13, s2
	s_cselect_b32 s3, s14, s3
	s_cselect_b32 s13, s15, s13
	s_add_co_i32 s14, s3, 1
	s_cmp_ge_u32 s13, s2
	s_cselect_b32 s2, s14, s3
	s_bfe_u32 s13, ttmp6, 0x40010
	s_and_b32 s3, ttmp7, 0xffff
	s_add_co_i32 s13, s13, 1
	s_bfe_u32 s14, ttmp6, 0x40004
	s_xor_b32 s2, s2, s12
	s_mul_i32 s13, s3, s13
	s_sub_co_i32 s26, s2, s12
	s_add_co_i32 s14, s14, s13
	s_cmp_eq_u32 s24, 0
	s_cselect_b32 s2, s3, s14
	s_abs_i32 s25, s26
	s_abs_i32 s20, s2
	s_cvt_f32_u32 s3, s25
	s_sub_co_i32 s13, 0, s25
	s_delay_alu instid0(SALU_CYCLE_2) | instskip(SKIP_2) | instid1(TRANS32_DEP_1)
	v_rcp_iflag_f32_e32 v1, s3
	s_load_b32 s3, s[0:1], 0x4c
	v_nop
	v_readfirstlane_b32 s12, v1
	s_mul_f32 s12, s12, 0x4f7ffffe
	s_delay_alu instid0(SALU_CYCLE_3) | instskip(NEXT) | instid1(SALU_CYCLE_3)
	s_cvt_u32_f32 s12, s12
	s_mul_i32 s13, s13, s12
	s_wait_kmcnt 0x0
	s_and_b32 s3, s3, 0xffff
	s_mul_hi_u32 s13, s12, s13
	s_delay_alu instid0(SALU_CYCLE_1)
	s_add_co_i32 s22, s12, s13
	s_cmp_lg_u32 s3, 1
	s_cbranch_scc1 .LBB0_7
; %bb.1:
	v_sub_nc_u32_e32 v1, 0x3038, v0
	s_mov_b32 s12, s21
	s_mov_b32 s13, s21
	;; [unrolled: 1-line block ×4, first 2 shown]
	v_dual_lshrrev_b32 v2, 2, v1 :: v_dual_lshlrev_b32 v1, 1, v0
	s_delay_alu instid0(VALU_DEP_1) | instskip(SKIP_2) | instid1(VALU_DEP_3)
	v_add_nc_u32_e32 v6, 1, v2
	v_mov_b64_e32 v[2:3], s[12:13]
	v_mov_b64_e32 v[4:5], s[14:15]
	v_and_b32_e32 v7, 0x1ff8, v6
.LBB0_2:                                ; =>This Inner Loop Header: Depth=1
	s_delay_alu instid0(VALU_DEP_1)
	v_add_nc_u32_e32 v7, -8, v7
	ds_store_b128 v1, v[2:5]
	ds_store_b128 v1, v[2:5] offset:16
	ds_store_b128 v1, v[2:5] offset:32
	ds_store_b128 v1, v[2:5] offset:48
	v_add_nc_u32_e32 v1, 64, v1
	v_cmp_eq_u32_e32 vcc_lo, 0, v7
	s_or_b32 s12, vcc_lo, s12
	s_delay_alu instid0(SALU_CYCLE_1)
	s_and_not1_b32 exec_lo, exec_lo, s12
	s_cbranch_execnz .LBB0_2
; %bb.3:
	s_or_b32 exec_lo, exec_lo, s12
	v_and_b32_e32 v3, 7, v6
	s_mov_b32 s13, 0
	s_mov_b32 s12, exec_lo
	s_delay_alu instid0(VALU_DEP_1)
	v_cmpx_ne_u32_e32 0, v3
	s_cbranch_execz .LBB0_6
; %bb.4:
	v_dual_mov_b32 v2, 0 :: v_dual_sub_nc_u32 v4, 0, v3
	s_delay_alu instid0(VALU_DEP_1)
	v_mov_b32_e32 v3, v2
.LBB0_5:                                ; =>This Inner Loop Header: Depth=1
	ds_store_b64 v1, v[2:3]
	v_add_nc_u32_e32 v1, 8, v1
	v_add_co_u32 v4, s14, v4, 1
	s_or_b32 s13, s14, s13
	s_delay_alu instid0(SALU_CYCLE_1)
	s_and_not1_b32 exec_lo, exec_lo, s13
	s_cbranch_execnz .LBB0_5
.LBB0_6:
	s_or_b32 exec_lo, exec_lo, s12
	v_sub_nc_u32_e32 v2, 0x303c, v0
	s_delay_alu instid0(VALU_DEP_1) | instskip(NEXT) | instid1(VALU_DEP_1)
	v_and_b32_e32 v3, 0x3ffc, v2
	v_add_nc_u32_e32 v1, v0, v3
	v_cmp_ne_u32_e64 s13, v2, v3
	s_load_b64 s[16:17], s[0:1], 0x10
	s_mov_b32 s23, s21
	s_and_saveexec_b32 s12, s13
	s_cbranch_execnz .LBB0_8
	s_branch .LBB0_10
.LBB0_7:
	v_mov_b32_e32 v1, v0
	s_mov_b32 s13, -1
	s_load_b64 s[16:17], s[0:1], 0x10
	s_mov_b32 s23, s21
	s_and_saveexec_b32 s12, s13
	s_cbranch_execz .LBB0_10
.LBB0_8:
	v_dual_mov_b32 v3, 0 :: v_dual_lshlrev_b32 v2, 1, v1
	s_lshl_b32 s13, s3, 1
	s_mov_b32 s14, 0
.LBB0_9:                                ; =>This Inner Loop Header: Depth=1
	v_add_nc_u32_e32 v1, s3, v1
	ds_store_b16 v2, v3
	v_add_nc_u32_e32 v2, s13, v2
	v_cmp_lt_u32_e32 vcc_lo, 0x303b, v1
	s_or_b32 s14, vcc_lo, s14
	s_delay_alu instid0(SALU_CYCLE_1)
	s_and_not1_b32 exec_lo, exec_lo, s14
	s_cbranch_execnz .LBB0_9
.LBB0_10:
	s_or_b32 exec_lo, exec_lo, s12
	s_clause 0x1
	s_load_b128 s[12:15], s[0:1], 0x0
	s_load_b64 s[18:19], s[0:1], 0x18
	s_ashr_i32 s27, s26, 31
	s_bfe_u32 s26, ttmp6, 0x4000c
	s_mul_u64 s[22:23], s[20:21], s[22:23]
	s_bfe_u32 s21, ttmp6, 0x40014
	s_add_co_i32 s26, s26, 1
	s_lshr_b32 s22, ttmp7, 16
	s_add_co_i32 s21, s21, 1
	s_and_b32 s29, ttmp6, 15
	s_mul_i32 s26, ttmp9, s26
	s_mul_i32 s21, s22, s21
	s_bfe_u32 s28, ttmp6, 0x40008
	s_add_co_i32 s29, s29, s26
	v_readfirstlane_b32 s26, v0
	s_ashr_i32 s3, s2, 31
	s_add_co_i32 s28, s28, s21
	s_cmp_eq_u32 s24, 0
	s_wait_xcnt 0x0
	s_add_nc_u64 s[0:1], s[0:1], 64
	s_mov_b32 s21, 0
	s_cselect_b32 s24, ttmp9, s29
	s_cselect_b32 s22, s22, s28
	s_cmp_lt_u32 s26, 0xb40
	s_wait_dscnt 0x0
	s_barrier_signal -1
	s_barrier_wait -1
	s_cbranch_scc0 .LBB0_23
; %bb.11:
	s_mul_i32 s28, s23, s25
	s_xor_b32 s27, s3, s27
	s_sub_co_i32 s20, s20, s28
	s_add_co_i32 s28, s23, 1
	s_sub_co_i32 s29, s20, s25
	s_cmp_ge_u32 s20, s25
	s_mul_i32 s4, s4, s24
	s_cselect_b32 s23, s28, s23
	s_cselect_b32 s20, s29, s20
	s_add_co_i32 s28, s23, 1
	s_cmp_ge_u32 s20, s25
	v_and_b32_e32 v0, 63, v0
	s_cselect_b32 s20, s28, s23
	s_mul_i32 s23, s7, s6
	s_xor_b32 s20, s20, s27
	s_lshr_b32 s25, s26, 6
	s_sub_co_i32 s20, s20, s27
	v_lshlrev_b32_e32 v1, 2, v0
	s_add_co_i32 s4, s20, s4
	s_mul_i32 s27, s7, s25
	s_mul_i32 s4, s4, s5
	;; [unrolled: 1-line block ×3, first 2 shown]
	s_add_co_i32 s4, s4, s22
	v_lshl_add_u32 v2, s27, 1, v1
	s_mul_i32 s4, s23, s4
	s_add_co_i32 s23, s25, -4
	s_ashr_i32 s5, s4, 31
	s_lshl_b32 s20, s7, 3
	s_lshl_b64 s[4:5], s[4:5], 1
	v_cmp_gt_u32_e32 vcc_lo, 40, v0
	s_wait_kmcnt 0x0
	s_add_nc_u64 s[4:5], s[12:13], s[4:5]
	s_add_co_i32 s12, s26, 0x154
	s_mov_b32 s13, s23
	s_branch .LBB0_13
.LBB0_12:                               ;   in Loop: Header=BB0_13 Depth=1
	s_or_b32 exec_lo, exec_lo, s27
	v_add_nc_u32_e32 v2, s20, v2
	s_add_co_i32 s13, s13, 4
	s_addk_co_i32 s12, 0x2a0
	s_cmp_gt_u32 s13, 40
	s_cbranch_scc1 .LBB0_15
.LBB0_13:                               ; =>This Inner Loop Header: Depth=1
	s_and_saveexec_b32 s27, vcc_lo
	s_cbranch_execz .LBB0_12
; %bb.14:                               ;   in Loop: Header=BB0_13 Depth=1
	v_readfirstlane_b32 s28, v0
	s_lshl_b32 s28, s28, 2
	s_delay_alu instid0(SALU_CYCLE_1)
	s_add_co_i32 s28, s12, s28
	;;#ASMSTART
	s_mov_b32 m0, s28
	s_nop 1

	;;#ASMEND
	;;#ASMSTART
	global_load_lds_dword v2, s[4:5] offset:0
	;;#ASMEND
	s_branch .LBB0_12
.LBB0_15:
	s_add_co_i32 s12, s6, s25
	s_mov_b32 s13, s23
	s_mul_i32 s12, s7, s12
	s_delay_alu instid0(SALU_CYCLE_1)
	v_lshl_add_u32 v2, s12, 1, v1
	s_add_co_i32 s12, s26, 0x217c
	s_branch .LBB0_17
.LBB0_16:                               ;   in Loop: Header=BB0_17 Depth=1
	s_or_b32 exec_lo, exec_lo, s27
	v_add_nc_u32_e32 v2, s20, v2
	s_add_co_i32 s13, s13, 4
	s_addk_co_i32 s12, 0x2a0
	s_cmp_lt_u32 s13, 41
	s_cbranch_scc0 .LBB0_19
.LBB0_17:                               ; =>This Inner Loop Header: Depth=1
	s_and_saveexec_b32 s27, vcc_lo
	s_cbranch_execz .LBB0_16
; %bb.18:                               ;   in Loop: Header=BB0_17 Depth=1
	v_readfirstlane_b32 s28, v0
	s_lshl_b32 s28, s28, 2
	s_delay_alu instid0(SALU_CYCLE_1)
	s_add_co_i32 s28, s12, s28
	;;#ASMSTART
	s_mov_b32 m0, s28
	s_nop 1

	;;#ASMEND
	;;#ASMSTART
	global_load_lds_dword v2, s[4:5] offset:0
	;;#ASMEND
	s_branch .LBB0_16
.LBB0_19:
	s_lshl_b32 s6, s6, 1
	s_delay_alu instid0(SALU_CYCLE_1) | instskip(NEXT) | instid1(SALU_CYCLE_1)
	s_add_co_i32 s25, s25, s6
	s_mul_i32 s6, s7, s25
	s_delay_alu instid0(SALU_CYCLE_1)
	v_lshl_add_u32 v1, s6, 1, v1
	s_add_co_i32 s6, s26, 0x41a4
	s_branch .LBB0_21
.LBB0_20:                               ;   in Loop: Header=BB0_21 Depth=1
	s_or_b32 exec_lo, exec_lo, s7
	v_add_nc_u32_e32 v1, s20, v1
	s_add_co_i32 s23, s23, 4
	s_addk_co_i32 s6, 0x2a0
	s_cmp_lt_u32 s23, 41
	s_cbranch_scc0 .LBB0_23
.LBB0_21:                               ; =>This Inner Loop Header: Depth=1
	s_and_saveexec_b32 s7, vcc_lo
	s_cbranch_execz .LBB0_20
; %bb.22:                               ;   in Loop: Header=BB0_21 Depth=1
	v_readfirstlane_b32 s12, v0
	s_lshl_b32 s12, s12, 2
	s_delay_alu instid0(SALU_CYCLE_1)
	s_add_co_i32 s12, s6, s12
	;;#ASMSTART
	s_mov_b32 m0, s12
	s_nop 1

	;;#ASMEND
	;;#ASMSTART
	global_load_lds_dword v1, s[4:5] offset:0
	;;#ASMEND
	s_branch .LBB0_20
.LBB0_23:
	s_mul_i32 s4, s2, 0x4b
	s_delay_alu instid0(SALU_CYCLE_1) | instskip(SKIP_1) | instid1(SALU_CYCLE_1)
	v_dual_mov_b32 v39, 0 :: v_dual_mov_b32 v40, s4
	s_ashr_i32 s5, s4, 31
	s_lshl_b64 s[6:7], s[4:5], 1
	s_wait_kmcnt 0x0
	s_cmp_lg_u64 s[18:19], 0
	s_add_nc_u64 s[6:7], s[16:17], s[6:7]
	s_clause 0xa
	global_load_b128 v[32:35], v39, s[6:7]
	global_load_b128 v[28:31], v39, s[6:7] offset:16
	global_load_b128 v[24:27], v39, s[6:7] offset:32
	;; [unrolled: 1-line block ×8, first 2 shown]
	global_load_b32 v38, v39, s[6:7] offset:144
	global_load_u16 v37, v40, s[16:17] offset:148 scale_offset
	s_cbranch_scc0 .LBB0_25
; %bb.24:
	s_lshl_b64 s[4:5], s[2:3], 1
	s_delay_alu instid0(SALU_CYCLE_1)
	s_add_nc_u64 s[4:5], s[18:19], s[4:5]
	s_load_u16 s3, s[4:5], 0x0
	s_wait_kmcnt 0x0
	s_lshl_b32 s21, s3, 16
.LBB0_25:
	s_mul_i32 s3, s8, s24
	s_wait_loadcnt 0xa
	s_wait_xcnt 0x0
	v_dual_lshlrev_b32 v39, 16, v32 :: v_dual_lshlrev_b32 v40, 16, v33
	s_add_co_i32 s2, s3, s2
	s_mul_i32 s3, s11, s10
	s_mul_i32 s2, s2, s9
	v_and_b32_e32 v32, 0xffff0000, v32
	s_add_co_i32 s2, s2, s22
	v_and_b32_e32 v33, 0xffff0000, v33
	s_mul_i32 s2, s3, s2
	v_dual_lshlrev_b32 v41, 16, v34 :: v_dual_lshlrev_b32 v42, 16, v35
	s_ashr_i32 s3, s2, 31
	v_and_b32_e32 v34, 0xffff0000, v34
	v_and_b32_e32 v35, 0xffff0000, v35
	s_wait_loadcnt 0x9
	v_dual_lshlrev_b32 v43, 16, v28 :: v_dual_lshlrev_b32 v44, 16, v29
	v_and_b32_e32 v28, 0xffff0000, v28
	v_and_b32_e32 v29, 0xffff0000, v29
	v_dual_lshlrev_b32 v45, 16, v30 :: v_dual_lshlrev_b32 v46, 16, v31
	v_and_b32_e32 v30, 0xffff0000, v30
	v_and_b32_e32 v31, 0xffff0000, v31
	s_wait_loadcnt 0x8
	v_dual_lshlrev_b32 v47, 16, v24 :: v_dual_lshlrev_b32 v48, 16, v25
	v_and_b32_e32 v24, 0xffff0000, v24
	v_and_b32_e32 v25, 0xffff0000, v25
	v_dual_lshlrev_b32 v49, 16, v26 :: v_dual_lshlrev_b32 v50, 16, v27
	;; [unrolled: 7-line block ×8, first 2 shown]
	v_and_b32_e32 v2, 0xffff0000, v2
	v_and_b32_e32 v3, 0xffff0000, v3
	s_wait_loadcnt 0x0
	v_dual_lshlrev_b32 v75, 16, v38 :: v_dual_lshlrev_b32 v37, 16, v37
	v_and_b32_e32 v38, 0xffff0000, v38
	v_mov_b32_e32 v76, s21
	s_lshl_b64 s[2:3], s[2:3], 1
	;;#ASMSTART
	s_waitcnt vmcnt(0)

	;;#ASMEND
	s_add_nc_u64 s[2:3], s[14:15], s[2:3]
	s_mov_b32 s4, 0
	s_barrier_signal -1
	s_barrier_wait -1
.LBB0_26:                               ; =>This Inner Loop Header: Depth=1
	v_and_b32_e32 v77, 0xffff, v36
	s_delay_alu instid0(VALU_DEP_1) | instskip(NEXT) | instid1(VALU_DEP_1)
	v_mul_u32_u24_e32 v77, 0xcccd, v77
	v_lshrrev_b32_e32 v87, 22, v77
	s_delay_alu instid0(VALU_DEP_1) | instskip(NEXT) | instid1(VALU_DEP_1)
	v_mul_lo_u16 v77, 0x50, v87
	v_sub_nc_u16 v77, v36, v77
	s_delay_alu instid0(VALU_DEP_1) | instskip(NEXT) | instid1(VALU_DEP_1)
	v_and_b32_e32 v88, 0xffff, v77
	v_lshlrev_b32_e32 v77, 1, v88
	s_delay_alu instid0(VALU_DEP_1)
	v_mad_u32_u24 v77, 0xa8, v87, v77
	;;#ASMSTART
	ds_read_b32 v89, v77 offset:0
	;;#ASMEND
	;;#ASMSTART
	ds_read_b32 v90, v77 offset:4
	;;#ASMEND
	;; [unrolled: 3-line block ×45, first 2 shown]
	;;#ASMSTART
	s_waitcnt lgkmcnt(0)

	;;#ASMEND
	; sched_barrier mask(0x00000000)
	v_dual_mov_b32 v125, v76 :: v_dual_lshlrev_b32 v124, 16, v89
	;;#ASMSTART
	v_fmac_f32 v125, v39, v124
	;;#ASMEND
	v_and_b32_e32 v89, 0xffff0000, v89
	;;#ASMSTART
	v_fmac_f32 v125, v32, v89
	;;#ASMEND
	v_dual_lshlrev_b32 v126, 16, v90 :: v_dual_lshlrev_b32 v124, 16, v91
	;;#ASMSTART
	v_fmac_f32 v125, v40, v126
	;;#ASMEND
	v_and_b32_e32 v90, 0xffff0000, v90
	;;#ASMSTART
	v_fmac_f32 v125, v33, v90
	;;#ASMEND
	;;#ASMSTART
	v_fmac_f32 v125, v41, v124
	;;#ASMEND
	v_mad_u32 v87, s11, v87, v88
	v_dual_lshlrev_b32 v88, 16, v92 :: v_dual_lshlrev_b32 v127, 16, v93
	;;#ASMSTART
	v_fmac_f32 v125, v34, v88
	;;#ASMEND
	v_and_b32_e32 v92, 0xffff0000, v92
	;;#ASMSTART
	v_fmac_f32 v125, v42, v92
	;;#ASMEND
	;;#ASMSTART
	v_fmac_f32 v125, v35, v127
	;;#ASMEND
	v_and_b32_e32 v93, 0xffff0000, v93
	;;#ASMSTART
	v_fmac_f32 v125, v43, v93
	;;#ASMEND
	v_dual_lshlrev_b32 v128, 16, v94 :: v_dual_lshlrev_b32 v88, 16, v95
	;;#ASMSTART
	v_fmac_f32 v125, v28, v128
	;;#ASMEND
	;;#ASMSTART
	v_fmac_f32 v125, v44, v88
	;;#ASMEND
	v_and_b32_e32 v95, 0xffff0000, v95
	;;#ASMSTART
	v_fmac_f32 v125, v29, v95
	;;#ASMEND
	v_dual_lshlrev_b32 v129, 16, v96 :: v_dual_lshlrev_b32 v130, 16, v97
	;;#ASMSTART
	v_fmac_f32 v125, v45, v129
	;;#ASMEND
	v_and_b32_e32 v96, 0xffff0000, v96
	;;#ASMSTART
	v_fmac_f32 v125, v30, v96
	;;#ASMEND
	;;#ASMSTART
	v_fmac_f32 v125, v46, v130
	;;#ASMEND
	v_dual_lshlrev_b32 v88, 16, v98 :: v_dual_lshlrev_b32 v131, 16, v99
	;;#ASMSTART
	v_fmac_f32 v125, v31, v88
	;;#ASMEND
	v_and_b32_e32 v98, 0xffff0000, v98
	;;#ASMSTART
	v_fmac_f32 v125, v47, v98
	;;#ASMEND
	;;#ASMSTART
	v_fmac_f32 v125, v24, v131
	;;#ASMEND
	v_and_b32_e32 v99, 0xffff0000, v99
	;;#ASMSTART
	v_fmac_f32 v125, v48, v99
	;;#ASMEND
	v_dual_lshlrev_b32 v132, 16, v100 :: v_dual_lshlrev_b32 v88, 16, v101
	;;#ASMSTART
	v_fmac_f32 v125, v25, v132
	;;#ASMEND
	;;#ASMSTART
	v_fmac_f32 v125, v49, v88
	;;#ASMEND
	v_and_b32_e32 v101, 0xffff0000, v101
	;;#ASMSTART
	v_fmac_f32 v125, v26, v101
	;;#ASMEND
	v_dual_lshlrev_b32 v133, 16, v102 :: v_dual_lshlrev_b32 v134, 16, v103
	;;#ASMSTART
	v_fmac_f32 v125, v50, v133
	;;#ASMEND
	v_and_b32_e32 v102, 0xffff0000, v102
	;;#ASMSTART
	v_fmac_f32 v125, v27, v102
	;;#ASMEND
	;;#ASMSTART
	v_fmac_f32 v125, v51, v134
	;;#ASMEND
	v_dual_lshlrev_b32 v88, 16, v104 :: v_dual_lshlrev_b32 v135, 16, v105
	;;#ASMSTART
	v_fmac_f32 v125, v20, v88
	;;#ASMEND
	v_and_b32_e32 v104, 0xffff0000, v104
	;;#ASMSTART
	v_fmac_f32 v125, v52, v104
	;;#ASMEND
	;;#ASMSTART
	v_fmac_f32 v125, v21, v135
	;;#ASMEND
	v_and_b32_e32 v105, 0xffff0000, v105
	;;#ASMSTART
	v_fmac_f32 v125, v53, v105
	;;#ASMEND
	v_dual_lshlrev_b32 v136, 16, v86 :: v_dual_lshlrev_b32 v137, 16, v107
	;;#ASMSTART
	v_fmac_f32 v125, v22, v136
	;;#ASMEND
	v_dual_lshlrev_b32 v88, 16, v106 :: v_dual_lshlrev_b32 v138, 16, v85
	;;#ASMSTART
	v_fmac_f32 v125, v54, v88
	;;#ASMEND
	v_and_b32_e32 v106, 0xffff0000, v106
	;;#ASMSTART
	v_fmac_f32 v125, v23, v106
	;;#ASMEND
	;;#ASMSTART
	v_fmac_f32 v125, v55, v137
	;;#ASMEND
	v_and_b32_e32 v107, 0xffff0000, v107
	;;#ASMSTART
	v_fmac_f32 v125, v16, v107
	;;#ASMEND
	;;#ASMSTART
	v_fmac_f32 v125, v56, v138
	;;#ASMEND
	v_dual_lshlrev_b32 v88, 16, v108 :: v_dual_lshlrev_b32 v139, 16, v109
	;;#ASMSTART
	v_fmac_f32 v125, v17, v88
	;;#ASMEND
	v_and_b32_e32 v108, 0xffff0000, v108
	;;#ASMSTART
	v_fmac_f32 v125, v57, v108
	;;#ASMEND
	;;#ASMSTART
	v_fmac_f32 v125, v18, v139
	;;#ASMEND
	v_and_b32_e32 v109, 0xffff0000, v109
	;;#ASMSTART
	v_fmac_f32 v125, v58, v109
	;;#ASMEND
	v_dual_lshlrev_b32 v140, 16, v84 :: v_dual_lshlrev_b32 v88, 16, v110
	;;#ASMSTART
	v_fmac_f32 v125, v19, v140
	;;#ASMEND
	;;#ASMSTART
	v_fmac_f32 v125, v59, v88
	;;#ASMEND
	v_and_b32_e32 v110, 0xffff0000, v110
	;;#ASMSTART
	v_fmac_f32 v125, v12, v110
	;;#ASMEND
	v_dual_lshlrev_b32 v141, 16, v111 :: v_dual_lshlrev_b32 v88, 16, v112
	;;#ASMSTART
	v_fmac_f32 v125, v60, v141
	;;#ASMEND
	v_and_b32_e32 v111, 0xffff0000, v111
	;;#ASMSTART
	v_fmac_f32 v125, v13, v111
	;;#ASMEND
	v_dual_lshlrev_b32 v142, 16, v83 :: v_dual_lshlrev_b32 v143, 16, v113
	;;#ASMSTART
	v_fmac_f32 v125, v61, v142
	;;#ASMEND
	;;#ASMSTART
	v_fmac_f32 v125, v14, v88
	;;#ASMEND
	v_and_b32_e32 v112, 0xffff0000, v112
	;;#ASMSTART
	v_fmac_f32 v125, v62, v112
	;;#ASMEND
	;;#ASMSTART
	v_fmac_f32 v125, v15, v143
	;;#ASMEND
	v_and_b32_e32 v113, 0xffff0000, v113
	;;#ASMSTART
	v_fmac_f32 v125, v63, v113
	;;#ASMEND
	v_dual_lshlrev_b32 v144, 16, v82 :: v_dual_lshlrev_b32 v145, 16, v115
	;;#ASMSTART
	v_fmac_f32 v125, v8, v144
	;;#ASMEND
	v_dual_lshlrev_b32 v88, 16, v114 :: v_dual_lshlrev_b32 v146, 16, v81
	;;#ASMSTART
	v_fmac_f32 v125, v64, v88
	;;#ASMEND
	v_and_b32_e32 v114, 0xffff0000, v114
	;;#ASMSTART
	v_fmac_f32 v125, v9, v114
	;;#ASMEND
	;;#ASMSTART
	v_fmac_f32 v125, v65, v145
	;;#ASMEND
	v_and_b32_e32 v115, 0xffff0000, v115
	;;#ASMSTART
	v_fmac_f32 v125, v10, v115
	;;#ASMEND
	;;#ASMSTART
	v_fmac_f32 v125, v66, v146
	;;#ASMEND
	v_dual_lshlrev_b32 v88, 16, v116 :: v_dual_lshlrev_b32 v147, 16, v117
	;;#ASMSTART
	v_fmac_f32 v125, v11, v88
	;;#ASMEND
	v_and_b32_e32 v116, 0xffff0000, v116
	;;#ASMSTART
	v_fmac_f32 v125, v67, v116
	;;#ASMEND
	;;#ASMSTART
	v_fmac_f32 v125, v4, v147
	;;#ASMEND
	v_and_b32_e32 v117, 0xffff0000, v117
	;;#ASMSTART
	v_fmac_f32 v125, v68, v117
	;;#ASMEND
	v_dual_lshlrev_b32 v148, 16, v80 :: v_dual_lshlrev_b32 v88, 16, v118
	;;#ASMSTART
	v_fmac_f32 v125, v5, v148
	;;#ASMEND
	;;#ASMSTART
	v_fmac_f32 v125, v69, v88
	;;#ASMEND
	v_and_b32_e32 v118, 0xffff0000, v118
	;;#ASMSTART
	v_fmac_f32 v125, v6, v118
	;;#ASMEND
	v_dual_lshlrev_b32 v149, 16, v119 :: v_dual_lshlrev_b32 v88, 16, v120
	;;#ASMSTART
	v_fmac_f32 v125, v70, v149
	;;#ASMEND
	v_and_b32_e32 v119, 0xffff0000, v119
	;;#ASMSTART
	v_fmac_f32 v125, v7, v119
	;;#ASMEND
	v_dual_lshlrev_b32 v150, 16, v79 :: v_dual_lshlrev_b32 v151, 16, v121
	;;#ASMSTART
	v_fmac_f32 v125, v71, v150
	;;#ASMEND
	;;#ASMSTART
	v_fmac_f32 v125, v0, v88
	;;#ASMEND
	v_and_b32_e32 v120, 0xffff0000, v120
	;;#ASMSTART
	v_fmac_f32 v125, v72, v120
	;;#ASMEND
	;;#ASMSTART
	v_fmac_f32 v125, v1, v151
	;;#ASMEND
	v_and_b32_e32 v121, 0xffff0000, v121
	;;#ASMSTART
	v_fmac_f32 v125, v73, v121
	;;#ASMEND
	v_dual_lshlrev_b32 v152, 16, v78 :: v_dual_lshlrev_b32 v153, 16, v123
	;;#ASMSTART
	v_fmac_f32 v125, v2, v152
	;;#ASMEND
	v_dual_lshlrev_b32 v88, 16, v122 :: v_dual_lshlrev_b32 v154, 16, v77
	;;#ASMSTART
	v_fmac_f32 v125, v74, v88
	;;#ASMEND
	v_and_b32_e32 v122, 0xffff0000, v122
	;;#ASMSTART
	v_fmac_f32 v125, v3, v122
	;;#ASMEND
	;;#ASMSTART
	v_fmac_f32 v125, v75, v153
	;;#ASMEND
	v_and_b32_e32 v123, 0xffff0000, v123
	;;#ASMSTART
	v_fmac_f32 v125, v38, v123
	;;#ASMEND
	;;#ASMSTART
	v_fmac_f32 v125, v37, v154
	;;#ASMEND
	v_cvt_pk_bf16_f32 v88, v125, s0
	v_mov_b32_e32 v125, v76
	v_and_b32_e32 v86, 0xffff0000, v86
	v_and_b32_e32 v85, 0xffff0000, v85
	;; [unrolled: 1-line block ×3, first 2 shown]
	global_store_b16 v87, v88, s[2:3] scale_offset
	;;#ASMSTART
	v_fmac_f32 v125, v39, v89
	;;#ASMEND
	;;#ASMSTART
	v_fmac_f32 v125, v32, v126
	;;#ASMEND
	;; [unrolled: 3-line block ×4, first 2 shown]
	s_wait_xcnt 0x0
	v_and_b32_e32 v88, 0xffff0000, v91
	;;#ASMSTART
	v_fmac_f32 v125, v41, v88
	;;#ASMEND
	;;#ASMSTART
	v_fmac_f32 v125, v34, v92
	;;#ASMEND
	;;#ASMSTART
	v_fmac_f32 v125, v42, v127
	;;#ASMEND
	;;#ASMSTART
	v_fmac_f32 v125, v35, v93
	;;#ASMEND
	;;#ASMSTART
	v_fmac_f32 v125, v43, v128
	;;#ASMEND
	v_and_b32_e32 v88, 0xffff0000, v94
	;;#ASMSTART
	v_fmac_f32 v125, v28, v88
	;;#ASMEND
	;;#ASMSTART
	v_fmac_f32 v125, v44, v95
	;;#ASMEND
	;;#ASMSTART
	v_fmac_f32 v125, v29, v129
	;;#ASMEND
	;;#ASMSTART
	v_fmac_f32 v125, v45, v96
	;;#ASMEND
	;;#ASMSTART
	v_fmac_f32 v125, v30, v130
	;;#ASMEND
	;; [unrolled: 16-line block ×5, first 2 shown]
	;;#ASMSTART
	v_fmac_f32 v125, v22, v86
	;;#ASMEND
	;;#ASMSTART
	v_fmac_f32 v125, v54, v106
	;;#ASMEND
	;; [unrolled: 3-line block ×15, first 2 shown]
	v_and_b32_e32 v83, 0xffff0000, v83
	;;#ASMSTART
	v_fmac_f32 v125, v61, v83
	;;#ASMEND
	;;#ASMSTART
	v_fmac_f32 v125, v14, v112
	;;#ASMEND
	;;#ASMSTART
	v_fmac_f32 v125, v62, v143
	;;#ASMEND
	;;#ASMSTART
	v_fmac_f32 v125, v15, v113
	;;#ASMEND
	;;#ASMSTART
	v_fmac_f32 v125, v63, v144
	;;#ASMEND
	v_and_b32_e32 v82, 0xffff0000, v82
	;;#ASMSTART
	v_fmac_f32 v125, v8, v82
	;;#ASMEND
	;;#ASMSTART
	v_fmac_f32 v125, v64, v114
	;;#ASMEND
	;;#ASMSTART
	v_fmac_f32 v125, v9, v145
	;;#ASMEND
	;;#ASMSTART
	v_fmac_f32 v125, v65, v115
	;;#ASMEND
	;;#ASMSTART
	v_fmac_f32 v125, v10, v146
	;;#ASMEND
	;; [unrolled: 16-line block ×6, first 2 shown]
	v_and_b32_e32 v77, 0xffff0000, v77
	;;#ASMSTART
	v_fmac_f32 v125, v37, v77
	;;#ASMEND
	s_load_b32 s5, s[0:1], 0xc
	v_cvt_pk_bf16_f32 v77, v125, s0
	global_store_b16 v87, v77, s[2:3] offset:2 scale_offset
	s_wait_kmcnt 0x0
	s_and_b32 s5, s5, 0xffff
	s_delay_alu instid0(SALU_CYCLE_1) | instskip(NEXT) | instid1(VALU_DEP_1)
	v_lshl_add_u32 v36, s5, 1, v36
	v_cmp_lt_u32_e32 vcc_lo, 0xe0f, v36
	s_or_b32 s4, vcc_lo, s4
	s_wait_xcnt 0x0
	s_and_not1_b32 exec_lo, exec_lo, s4
	s_cbranch_execnz .LBB0_26
; %bb.27:
	s_sendmsg sendmsg(MSG_DEALLOC_VGPRS)
	s_endpgm
	.section	.rodata,"a",@progbits
	.p2align	6, 0x0
	.amdhsa_kernel miopen_conv3d_depthwise_fwd
		.amdhsa_group_segment_fixed_size 32576
		.amdhsa_private_segment_fixed_size 0
		.amdhsa_kernarg_size 320
		.amdhsa_user_sgpr_count 2
		.amdhsa_user_sgpr_dispatch_ptr 0
		.amdhsa_user_sgpr_queue_ptr 0
		.amdhsa_user_sgpr_kernarg_segment_ptr 1
		.amdhsa_user_sgpr_dispatch_id 0
		.amdhsa_user_sgpr_kernarg_preload_length 0
		.amdhsa_user_sgpr_kernarg_preload_offset 0
		.amdhsa_user_sgpr_private_segment_size 0
		.amdhsa_wavefront_size32 1
		.amdhsa_uses_dynamic_stack 0
		.amdhsa_enable_private_segment 0
		.amdhsa_system_sgpr_workgroup_id_x 1
		.amdhsa_system_sgpr_workgroup_id_y 1
		.amdhsa_system_sgpr_workgroup_id_z 1
		.amdhsa_system_sgpr_workgroup_info 0
		.amdhsa_system_vgpr_workitem_id 0
		.amdhsa_next_free_vgpr 155
		.amdhsa_next_free_sgpr 30
		.amdhsa_named_barrier_count 0
		.amdhsa_reserve_vcc 1
		.amdhsa_float_round_mode_32 0
		.amdhsa_float_round_mode_16_64 0
		.amdhsa_float_denorm_mode_32 3
		.amdhsa_float_denorm_mode_16_64 3
		.amdhsa_fp16_overflow 0
		.amdhsa_memory_ordered 1
		.amdhsa_forward_progress 1
		.amdhsa_inst_pref_size 23
		.amdhsa_round_robin_scheduling 0
		.amdhsa_exception_fp_ieee_invalid_op 0
		.amdhsa_exception_fp_denorm_src 0
		.amdhsa_exception_fp_ieee_div_zero 0
		.amdhsa_exception_fp_ieee_overflow 0
		.amdhsa_exception_fp_ieee_underflow 0
		.amdhsa_exception_fp_ieee_inexact 0
		.amdhsa_exception_int_div_zero 0
	.end_amdhsa_kernel
	.text
.Lfunc_end0:
	.size	miopen_conv3d_depthwise_fwd, .Lfunc_end0-miopen_conv3d_depthwise_fwd
                                        ; -- End function
	.set miopen_conv3d_depthwise_fwd.num_vgpr, 155
	.set miopen_conv3d_depthwise_fwd.num_agpr, 0
	.set miopen_conv3d_depthwise_fwd.numbered_sgpr, 30
	.set miopen_conv3d_depthwise_fwd.num_named_barrier, 0
	.set miopen_conv3d_depthwise_fwd.private_seg_size, 0
	.set miopen_conv3d_depthwise_fwd.uses_vcc, 1
	.set miopen_conv3d_depthwise_fwd.uses_flat_scratch, 0
	.set miopen_conv3d_depthwise_fwd.has_dyn_sized_stack, 0
	.set miopen_conv3d_depthwise_fwd.has_recursion, 0
	.set miopen_conv3d_depthwise_fwd.has_indirect_call, 0
	.section	.AMDGPU.csdata,"",@progbits
; Kernel info:
; codeLenInByte = 2828
; TotalNumSgprs: 32
; NumVgprs: 155
; ScratchSize: 0
; MemoryBound: 0
; FloatMode: 240
; IeeeMode: 1
; LDSByteSize: 32576 bytes/workgroup (compile time only)
; SGPRBlocks: 0
; VGPRBlocks: 9
; NumSGPRsForWavesPerEU: 32
; NumVGPRsForWavesPerEU: 155
; NamedBarCnt: 0
; Occupancy: 6
; WaveLimiterHint : 0
; COMPUTE_PGM_RSRC2:SCRATCH_EN: 0
; COMPUTE_PGM_RSRC2:USER_SGPR: 2
; COMPUTE_PGM_RSRC2:TRAP_HANDLER: 0
; COMPUTE_PGM_RSRC2:TGID_X_EN: 1
; COMPUTE_PGM_RSRC2:TGID_Y_EN: 1
; COMPUTE_PGM_RSRC2:TGID_Z_EN: 1
; COMPUTE_PGM_RSRC2:TIDIG_COMP_CNT: 0
	.text
	.p2alignl 7, 3214868480
	.fill 96, 4, 3214868480
	.section	.AMDGPU.gpr_maximums,"",@progbits
	.set amdgpu.max_num_vgpr, 0
	.set amdgpu.max_num_agpr, 0
	.set amdgpu.max_num_sgpr, 0
	.text
	.type	__hip_cuid_3e078390ee50a963,@object ; @__hip_cuid_3e078390ee50a963
	.section	.bss,"aw",@nobits
	.globl	__hip_cuid_3e078390ee50a963
__hip_cuid_3e078390ee50a963:
	.byte	0                               ; 0x0
	.size	__hip_cuid_3e078390ee50a963, 1

	.ident	"AMD clang version 22.0.0git (https://github.com/RadeonOpenCompute/llvm-project roc-7.2.4 26084 f58b06dce1f9c15707c5f808fd002e18c2accf7e)"
	.section	".note.GNU-stack","",@progbits
	.addrsig
	.addrsig_sym __hip_cuid_3e078390ee50a963
	.amdgpu_metadata
---
amdhsa.kernels:
  - .args:
      - .address_space:  global
        .offset:         0
        .size:           8
        .value_kind:     global_buffer
      - .actual_access:  write_only
        .address_space:  global
        .offset:         8
        .size:           8
        .value_kind:     global_buffer
      - .actual_access:  read_only
        .address_space:  global
        .offset:         16
        .size:           8
        .value_kind:     global_buffer
      - .actual_access:  read_only
        .address_space:  global
        .offset:         24
        .size:           8
        .value_kind:     global_buffer
      - .offset:         32
        .size:           4
        .value_kind:     by_value
      - .offset:         36
        .size:           4
        .value_kind:     by_value
      - .offset:         40
        .size:           4
        .value_kind:     by_value
      - .offset:         44
        .size:           4
        .value_kind:     by_value
      - .offset:         48
        .size:           4
        .value_kind:     by_value
      - .offset:         52
        .size:           4
        .value_kind:     by_value
      - .offset:         56
        .size:           4
        .value_kind:     by_value
      - .offset:         60
        .size:           4
        .value_kind:     by_value
      - .offset:         64
        .size:           4
        .value_kind:     hidden_block_count_x
      - .offset:         68
        .size:           4
        .value_kind:     hidden_block_count_y
      - .offset:         72
        .size:           4
        .value_kind:     hidden_block_count_z
      - .offset:         76
        .size:           2
        .value_kind:     hidden_group_size_x
      - .offset:         78
        .size:           2
        .value_kind:     hidden_group_size_y
      - .offset:         80
        .size:           2
        .value_kind:     hidden_group_size_z
      - .offset:         82
        .size:           2
        .value_kind:     hidden_remainder_x
      - .offset:         84
        .size:           2
        .value_kind:     hidden_remainder_y
      - .offset:         86
        .size:           2
        .value_kind:     hidden_remainder_z
      - .offset:         104
        .size:           8
        .value_kind:     hidden_global_offset_x
      - .offset:         112
        .size:           8
        .value_kind:     hidden_global_offset_y
      - .offset:         120
        .size:           8
        .value_kind:     hidden_global_offset_z
      - .offset:         128
        .size:           2
        .value_kind:     hidden_grid_dims
    .group_segment_fixed_size: 32576
    .kernarg_segment_align: 8
    .kernarg_segment_size: 320
    .language:       OpenCL C
    .language_version:
      - 2
      - 0
    .max_flat_workgroup_size: 256
    .name:           miopen_conv3d_depthwise_fwd
    .private_segment_fixed_size: 0
    .sgpr_count:     32
    .sgpr_spill_count: 0
    .symbol:         miopen_conv3d_depthwise_fwd.kd
    .uniform_work_group_size: 1
    .uses_dynamic_stack: false
    .vgpr_count:     155
    .vgpr_spill_count: 0
    .wavefront_size: 32
amdhsa.target:   amdgcn-amd-amdhsa--gfx1250
amdhsa.version:
  - 1
  - 2
...

	.end_amdgpu_metadata
